;; amdgpu-corpus repo=LLNL/RAJAPerf kind=compiled arch=gfx1201 opt=O3
	.amdgcn_target "amdgcn-amd-amdhsa--gfx1201"
	.amdhsa_code_object_version 6
	.section	.text._ZN8rajaperf4apps9matvec_3dILm256EEEvPdS2_S2_S2_S2_S2_S2_S2_S2_S2_S2_S2_S2_S2_S2_S2_S2_S2_S2_S2_S2_S2_S2_S2_S2_S2_S2_S2_S2_S2_S2_S2_S2_S2_S2_S2_S2_S2_S2_S2_S2_S2_S2_S2_S2_S2_S2_S2_S2_S2_S2_S2_S2_S2_S2_Plll,"axG",@progbits,_ZN8rajaperf4apps9matvec_3dILm256EEEvPdS2_S2_S2_S2_S2_S2_S2_S2_S2_S2_S2_S2_S2_S2_S2_S2_S2_S2_S2_S2_S2_S2_S2_S2_S2_S2_S2_S2_S2_S2_S2_S2_S2_S2_S2_S2_S2_S2_S2_S2_S2_S2_S2_S2_S2_S2_S2_S2_S2_S2_S2_S2_S2_S2_Plll,comdat
	.protected	_ZN8rajaperf4apps9matvec_3dILm256EEEvPdS2_S2_S2_S2_S2_S2_S2_S2_S2_S2_S2_S2_S2_S2_S2_S2_S2_S2_S2_S2_S2_S2_S2_S2_S2_S2_S2_S2_S2_S2_S2_S2_S2_S2_S2_S2_S2_S2_S2_S2_S2_S2_S2_S2_S2_S2_S2_S2_S2_S2_S2_S2_S2_S2_Plll ; -- Begin function _ZN8rajaperf4apps9matvec_3dILm256EEEvPdS2_S2_S2_S2_S2_S2_S2_S2_S2_S2_S2_S2_S2_S2_S2_S2_S2_S2_S2_S2_S2_S2_S2_S2_S2_S2_S2_S2_S2_S2_S2_S2_S2_S2_S2_S2_S2_S2_S2_S2_S2_S2_S2_S2_S2_S2_S2_S2_S2_S2_S2_S2_S2_S2_Plll
	.globl	_ZN8rajaperf4apps9matvec_3dILm256EEEvPdS2_S2_S2_S2_S2_S2_S2_S2_S2_S2_S2_S2_S2_S2_S2_S2_S2_S2_S2_S2_S2_S2_S2_S2_S2_S2_S2_S2_S2_S2_S2_S2_S2_S2_S2_S2_S2_S2_S2_S2_S2_S2_S2_S2_S2_S2_S2_S2_S2_S2_S2_S2_S2_S2_Plll
	.p2align	8
	.type	_ZN8rajaperf4apps9matvec_3dILm256EEEvPdS2_S2_S2_S2_S2_S2_S2_S2_S2_S2_S2_S2_S2_S2_S2_S2_S2_S2_S2_S2_S2_S2_S2_S2_S2_S2_S2_S2_S2_S2_S2_S2_S2_S2_S2_S2_S2_S2_S2_S2_S2_S2_S2_S2_S2_S2_S2_S2_S2_S2_S2_S2_S2_S2_Plll,@function
_ZN8rajaperf4apps9matvec_3dILm256EEEvPdS2_S2_S2_S2_S2_S2_S2_S2_S2_S2_S2_S2_S2_S2_S2_S2_S2_S2_S2_S2_S2_S2_S2_S2_S2_S2_S2_S2_S2_S2_S2_S2_S2_S2_S2_S2_S2_S2_S2_S2_S2_S2_S2_S2_S2_S2_S2_S2_S2_S2_S2_S2_S2_S2_Plll: ; @_ZN8rajaperf4apps9matvec_3dILm256EEEvPdS2_S2_S2_S2_S2_S2_S2_S2_S2_S2_S2_S2_S2_S2_S2_S2_S2_S2_S2_S2_S2_S2_S2_S2_S2_S2_S2_S2_S2_S2_S2_S2_S2_S2_S2_S2_S2_S2_S2_S2_S2_S2_S2_S2_S2_S2_S2_S2_S2_S2_S2_S2_S2_S2_Plll
; %bb.0:
	s_clause 0x1
	s_load_b32 s2, s[0:1], 0x1dc
	s_load_b128 s[4:7], s[0:1], 0x1c0
	s_wait_kmcnt 0x0
	s_and_b32 s2, s2, 0xffff
	s_delay_alu instid0(SALU_CYCLE_1) | instskip(NEXT) | instid1(VALU_DEP_1)
	v_mad_co_u64_u32 v[0:1], null, ttmp9, s2, v[0:1]
	v_add_co_u32 v1, s2, s4, v0
	s_wait_alu 0xf1ff
	v_add_co_ci_u32_e64 v2, null, s5, 0, s2
	s_delay_alu instid0(VALU_DEP_1)
	v_cmp_gt_i64_e32 vcc_lo, s[6:7], v[1:2]
	v_mov_b32_e32 v1, 0
	s_and_saveexec_b32 s2, vcc_lo
	s_cbranch_execz .LBB0_2
; %bb.1:
	s_load_b512 s[36:51], s[0:1], 0x180
	s_delay_alu instid0(VALU_DEP_1) | instskip(SKIP_1) | instid1(VALU_DEP_1)
	v_lshlrev_b64_e32 v[0:1], 3, v[0:1]
	s_wait_kmcnt 0x0
	v_add_co_u32 v0, vcc_lo, s50, v0
	s_delay_alu instid0(VALU_DEP_1)
	v_add_co_ci_u32_e64 v1, null, s51, v1, vcc_lo
	global_load_b64 v[0:1], v[0:1], off
	s_clause 0x1
	s_load_b512 s[52:67], s[0:1], 0xc0
	s_load_b512 s[4:19], s[0:1], 0x0
	s_wait_loadcnt 0x0
	v_lshlrev_b64_e32 v[0:1], 3, v[0:1]
	s_wait_kmcnt 0x0
	s_delay_alu instid0(VALU_DEP_1) | instskip(SKIP_1) | instid1(VALU_DEP_2)
	v_add_co_u32 v2, vcc_lo, s62, v0
	s_wait_alu 0xfffd
	v_add_co_ci_u32_e64 v3, null, s63, v1, vcc_lo
	v_add_co_u32 v4, vcc_lo, s8, v0
	s_wait_alu 0xfffd
	v_add_co_ci_u32_e64 v5, null, s9, v1, vcc_lo
	global_load_b64 v[2:3], v[2:3], off
	global_load_b64 v[4:5], v[4:5], off
	v_add_co_u32 v6, vcc_lo, s60, v0
	s_wait_alu 0xfffd
	v_add_co_ci_u32_e64 v7, null, s61, v1, vcc_lo
	v_add_co_u32 v8, vcc_lo, s6, v0
	s_wait_alu 0xfffd
	v_add_co_ci_u32_e64 v9, null, s7, v1, vcc_lo
	global_load_b64 v[6:7], v[6:7], off
	global_load_b64 v[8:9], v[8:9], off
	v_add_co_u32 v10, vcc_lo, s64, v0
	s_wait_alu 0xfffd
	v_add_co_ci_u32_e64 v11, null, s65, v1, vcc_lo
	v_add_co_u32 v12, vcc_lo, s10, v0
	s_wait_alu 0xfffd
	v_add_co_ci_u32_e64 v13, null, s11, v1, vcc_lo
	global_load_b64 v[10:11], v[10:11], off
	global_load_b64 v[12:13], v[12:13], off
	v_add_co_u32 v14, vcc_lo, s66, v0
	s_wait_alu 0xfffd
	v_add_co_ci_u32_e64 v15, null, s67, v1, vcc_lo
	v_add_co_u32 v16, vcc_lo, s12, v0
	s_wait_alu 0xfffd
	v_add_co_ci_u32_e64 v17, null, s13, v1, vcc_lo
	global_load_b64 v[14:15], v[14:15], off
	global_load_b64 v[16:17], v[16:17], off
	s_load_b512 s[60:75], s[0:1], 0x100
	s_wait_kmcnt 0x0
	v_add_co_u32 v18, vcc_lo, s60, v0
	s_wait_alu 0xfffd
	v_add_co_ci_u32_e64 v19, null, s61, v1, vcc_lo
	v_add_co_u32 v20, vcc_lo, s14, v0
	s_wait_alu 0xfffd
	v_add_co_ci_u32_e64 v21, null, s15, v1, vcc_lo
	global_load_b64 v[18:19], v[18:19], off
	global_load_b64 v[20:21], v[20:21], off
	v_add_co_u32 v22, vcc_lo, s62, v0
	s_wait_alu 0xfffd
	v_add_co_ci_u32_e64 v23, null, s63, v1, vcc_lo
	v_add_co_u32 v24, vcc_lo, s16, v0
	s_wait_alu 0xfffd
	v_add_co_ci_u32_e64 v25, null, s17, v1, vcc_lo
	global_load_b64 v[22:23], v[22:23], off
	global_load_b64 v[24:25], v[24:25], off
	;; [unrolled: 8-line block ×3, first 2 shown]
	s_load_b512 s[8:23], s[0:1], 0x40
	v_add_co_u32 v30, vcc_lo, s66, v0
	s_wait_alu 0xfffd
	v_add_co_ci_u32_e64 v31, null, s67, v1, vcc_lo
	s_wait_kmcnt 0x0
	v_add_co_u32 v32, vcc_lo, s8, v0
	s_wait_alu 0xfffd
	v_add_co_ci_u32_e64 v33, null, s9, v1, vcc_lo
	global_load_b64 v[30:31], v[30:31], off
	global_load_b64 v[32:33], v[32:33], off
	v_add_co_u32 v34, vcc_lo, s68, v0
	s_wait_alu 0xfffd
	v_add_co_ci_u32_e64 v35, null, s69, v1, vcc_lo
	v_add_co_u32 v36, vcc_lo, s10, v0
	s_wait_alu 0xfffd
	v_add_co_ci_u32_e64 v37, null, s11, v1, vcc_lo
	global_load_b64 v[34:35], v[34:35], off
	global_load_b64 v[36:37], v[36:37], off
	s_wait_loadcnt 0x10
	v_mul_f64_e32 v[2:3], v[2:3], v[4:5]
	v_add_co_u32 v4, vcc_lo, s70, v0
	s_wait_alu 0xfffd
	v_add_co_ci_u32_e64 v5, null, s71, v1, vcc_lo
	v_add_co_u32 v38, vcc_lo, s12, v0
	s_wait_alu 0xfffd
	v_add_co_ci_u32_e64 v39, null, s13, v1, vcc_lo
	global_load_b64 v[4:5], v[4:5], off
	global_load_b64 v[38:39], v[38:39], off
	s_wait_loadcnt 0x10
	v_fma_f64 v[2:3], v[6:7], v[8:9], v[2:3]
	v_add_co_u32 v6, vcc_lo, s72, v0
	s_wait_alu 0xfffd
	v_add_co_ci_u32_e64 v7, null, s73, v1, vcc_lo
	v_add_co_u32 v8, vcc_lo, s14, v0
	s_wait_alu 0xfffd
	v_add_co_ci_u32_e64 v9, null, s15, v1, vcc_lo
	global_load_b64 v[6:7], v[6:7], off
	global_load_b64 v[8:9], v[8:9], off
	s_wait_loadcnt 0x10
	v_fma_f64 v[2:3], v[10:11], v[12:13], v[2:3]
	v_add_co_u32 v10, vcc_lo, s74, v0
	s_wait_alu 0xfffd
	v_add_co_ci_u32_e64 v11, null, s75, v1, vcc_lo
	v_add_co_u32 v12, vcc_lo, s16, v0
	s_wait_alu 0xfffd
	v_add_co_ci_u32_e64 v13, null, s17, v1, vcc_lo
	global_load_b64 v[10:11], v[10:11], off
	global_load_b64 v[12:13], v[12:13], off
	s_load_b512 s[60:75], s[0:1], 0x140
	s_wait_loadcnt 0x10
	v_fma_f64 v[2:3], v[14:15], v[16:17], v[2:3]
	s_wait_kmcnt 0x0
	v_add_co_u32 v14, vcc_lo, s60, v0
	s_wait_alu 0xfffd
	v_add_co_ci_u32_e64 v15, null, s61, v1, vcc_lo
	v_add_co_u32 v16, vcc_lo, s18, v0
	s_wait_alu 0xfffd
	v_add_co_ci_u32_e64 v17, null, s19, v1, vcc_lo
	global_load_b64 v[14:15], v[14:15], off
	global_load_b64 v[16:17], v[16:17], off
	s_wait_loadcnt 0x10
	v_fma_f64 v[2:3], v[18:19], v[20:21], v[2:3]
	v_add_co_u32 v18, vcc_lo, s62, v0
	s_wait_alu 0xfffd
	v_add_co_ci_u32_e64 v19, null, s63, v1, vcc_lo
	v_add_co_u32 v20, vcc_lo, s20, v0
	s_wait_alu 0xfffd
	v_add_co_ci_u32_e64 v21, null, s21, v1, vcc_lo
	global_load_b64 v[18:19], v[18:19], off
	global_load_b64 v[20:21], v[20:21], off
	s_wait_loadcnt 0x10
	v_fma_f64 v[2:3], v[22:23], v[24:25], v[2:3]
	v_add_co_u32 v22, vcc_lo, s64, v0
	s_wait_alu 0xfffd
	v_add_co_ci_u32_e64 v23, null, s65, v1, vcc_lo
	v_add_co_u32 v24, vcc_lo, s22, v0
	s_wait_alu 0xfffd
	v_add_co_ci_u32_e64 v25, null, s23, v1, vcc_lo
	global_load_b64 v[22:23], v[22:23], off
	global_load_b64 v[24:25], v[24:25], off
	s_load_b512 s[8:23], s[0:1], 0x80
	s_wait_loadcnt 0x10
	v_fma_f64 v[2:3], v[26:27], v[28:29], v[2:3]
	v_add_co_u32 v26, vcc_lo, s66, v0
	s_wait_alu 0xfffd
	v_add_co_ci_u32_e64 v27, null, s67, v1, vcc_lo
	s_wait_kmcnt 0x0
	v_add_co_u32 v28, vcc_lo, s8, v0
	s_wait_alu 0xfffd
	v_add_co_ci_u32_e64 v29, null, s9, v1, vcc_lo
	global_load_b64 v[26:27], v[26:27], off
	global_load_b64 v[28:29], v[28:29], off
	s_wait_loadcnt 0x10
	v_fma_f64 v[2:3], v[30:31], v[32:33], v[2:3]
	v_add_co_u32 v30, vcc_lo, s68, v0
	s_wait_alu 0xfffd
	v_add_co_ci_u32_e64 v31, null, s69, v1, vcc_lo
	v_add_co_u32 v32, vcc_lo, s10, v0
	s_wait_alu 0xfffd
	v_add_co_ci_u32_e64 v33, null, s11, v1, vcc_lo
	global_load_b64 v[30:31], v[30:31], off
	global_load_b64 v[32:33], v[32:33], off
	s_wait_loadcnt 0x10
	v_fma_f64 v[2:3], v[34:35], v[36:37], v[2:3]
	v_add_co_u32 v34, vcc_lo, s70, v0
	s_wait_alu 0xfffd
	v_add_co_ci_u32_e64 v35, null, s71, v1, vcc_lo
	;; [unrolled: 10-line block ×11, first 2 shown]
	v_add_co_u32 v36, vcc_lo, s58, v0
	s_wait_alu 0xfffd
	v_add_co_ci_u32_e64 v37, null, s59, v1, vcc_lo
	global_load_b64 v[34:35], v[34:35], off
	global_load_b64 v[36:37], v[36:37], off
	v_add_co_u32 v0, vcc_lo, s4, v0
	s_wait_alu 0xfffd
	v_add_co_ci_u32_e64 v1, null, s5, v1, vcc_lo
	s_wait_loadcnt 0x10
	v_fma_f64 v[2:3], v[4:5], v[38:39], v[2:3]
	s_wait_loadcnt 0xe
	s_delay_alu instid0(VALU_DEP_1) | instskip(SKIP_1) | instid1(VALU_DEP_1)
	v_fma_f64 v[2:3], v[6:7], v[8:9], v[2:3]
	s_wait_loadcnt 0xc
	v_fma_f64 v[2:3], v[10:11], v[12:13], v[2:3]
	s_wait_loadcnt 0xa
	s_delay_alu instid0(VALU_DEP_1) | instskip(SKIP_1) | instid1(VALU_DEP_1)
	v_fma_f64 v[2:3], v[14:15], v[16:17], v[2:3]
	;; [unrolled: 5-line block ×4, first 2 shown]
	s_wait_loadcnt 0x0
	v_fma_f64 v[2:3], v[34:35], v[36:37], v[2:3]
	global_store_b64 v[0:1], v[2:3], off
.LBB0_2:
	s_endpgm
	.section	.rodata,"a",@progbits
	.p2align	6, 0x0
	.amdhsa_kernel _ZN8rajaperf4apps9matvec_3dILm256EEEvPdS2_S2_S2_S2_S2_S2_S2_S2_S2_S2_S2_S2_S2_S2_S2_S2_S2_S2_S2_S2_S2_S2_S2_S2_S2_S2_S2_S2_S2_S2_S2_S2_S2_S2_S2_S2_S2_S2_S2_S2_S2_S2_S2_S2_S2_S2_S2_S2_S2_S2_S2_S2_S2_S2_Plll
		.amdhsa_group_segment_fixed_size 0
		.amdhsa_private_segment_fixed_size 0
		.amdhsa_kernarg_size 720
		.amdhsa_user_sgpr_count 2
		.amdhsa_user_sgpr_dispatch_ptr 0
		.amdhsa_user_sgpr_queue_ptr 0
		.amdhsa_user_sgpr_kernarg_segment_ptr 1
		.amdhsa_user_sgpr_dispatch_id 0
		.amdhsa_user_sgpr_private_segment_size 0
		.amdhsa_wavefront_size32 1
		.amdhsa_uses_dynamic_stack 0
		.amdhsa_enable_private_segment 0
		.amdhsa_system_sgpr_workgroup_id_x 1
		.amdhsa_system_sgpr_workgroup_id_y 0
		.amdhsa_system_sgpr_workgroup_id_z 0
		.amdhsa_system_sgpr_workgroup_info 0
		.amdhsa_system_vgpr_workitem_id 0
		.amdhsa_next_free_vgpr 40
		.amdhsa_next_free_sgpr 76
		.amdhsa_reserve_vcc 1
		.amdhsa_float_round_mode_32 0
		.amdhsa_float_round_mode_16_64 0
		.amdhsa_float_denorm_mode_32 3
		.amdhsa_float_denorm_mode_16_64 3
		.amdhsa_fp16_overflow 0
		.amdhsa_workgroup_processor_mode 1
		.amdhsa_memory_ordered 1
		.amdhsa_forward_progress 1
		.amdhsa_inst_pref_size 19
		.amdhsa_round_robin_scheduling 0
		.amdhsa_exception_fp_ieee_invalid_op 0
		.amdhsa_exception_fp_denorm_src 0
		.amdhsa_exception_fp_ieee_div_zero 0
		.amdhsa_exception_fp_ieee_overflow 0
		.amdhsa_exception_fp_ieee_underflow 0
		.amdhsa_exception_fp_ieee_inexact 0
		.amdhsa_exception_int_div_zero 0
	.end_amdhsa_kernel
	.section	.text._ZN8rajaperf4apps9matvec_3dILm256EEEvPdS2_S2_S2_S2_S2_S2_S2_S2_S2_S2_S2_S2_S2_S2_S2_S2_S2_S2_S2_S2_S2_S2_S2_S2_S2_S2_S2_S2_S2_S2_S2_S2_S2_S2_S2_S2_S2_S2_S2_S2_S2_S2_S2_S2_S2_S2_S2_S2_S2_S2_S2_S2_S2_S2_Plll,"axG",@progbits,_ZN8rajaperf4apps9matvec_3dILm256EEEvPdS2_S2_S2_S2_S2_S2_S2_S2_S2_S2_S2_S2_S2_S2_S2_S2_S2_S2_S2_S2_S2_S2_S2_S2_S2_S2_S2_S2_S2_S2_S2_S2_S2_S2_S2_S2_S2_S2_S2_S2_S2_S2_S2_S2_S2_S2_S2_S2_S2_S2_S2_S2_S2_S2_Plll,comdat
.Lfunc_end0:
	.size	_ZN8rajaperf4apps9matvec_3dILm256EEEvPdS2_S2_S2_S2_S2_S2_S2_S2_S2_S2_S2_S2_S2_S2_S2_S2_S2_S2_S2_S2_S2_S2_S2_S2_S2_S2_S2_S2_S2_S2_S2_S2_S2_S2_S2_S2_S2_S2_S2_S2_S2_S2_S2_S2_S2_S2_S2_S2_S2_S2_S2_S2_S2_S2_Plll, .Lfunc_end0-_ZN8rajaperf4apps9matvec_3dILm256EEEvPdS2_S2_S2_S2_S2_S2_S2_S2_S2_S2_S2_S2_S2_S2_S2_S2_S2_S2_S2_S2_S2_S2_S2_S2_S2_S2_S2_S2_S2_S2_S2_S2_S2_S2_S2_S2_S2_S2_S2_S2_S2_S2_S2_S2_S2_S2_S2_S2_S2_S2_S2_S2_S2_S2_Plll
                                        ; -- End function
	.set _ZN8rajaperf4apps9matvec_3dILm256EEEvPdS2_S2_S2_S2_S2_S2_S2_S2_S2_S2_S2_S2_S2_S2_S2_S2_S2_S2_S2_S2_S2_S2_S2_S2_S2_S2_S2_S2_S2_S2_S2_S2_S2_S2_S2_S2_S2_S2_S2_S2_S2_S2_S2_S2_S2_S2_S2_S2_S2_S2_S2_S2_S2_S2_Plll.num_vgpr, 40
	.set _ZN8rajaperf4apps9matvec_3dILm256EEEvPdS2_S2_S2_S2_S2_S2_S2_S2_S2_S2_S2_S2_S2_S2_S2_S2_S2_S2_S2_S2_S2_S2_S2_S2_S2_S2_S2_S2_S2_S2_S2_S2_S2_S2_S2_S2_S2_S2_S2_S2_S2_S2_S2_S2_S2_S2_S2_S2_S2_S2_S2_S2_S2_S2_Plll.num_agpr, 0
	.set _ZN8rajaperf4apps9matvec_3dILm256EEEvPdS2_S2_S2_S2_S2_S2_S2_S2_S2_S2_S2_S2_S2_S2_S2_S2_S2_S2_S2_S2_S2_S2_S2_S2_S2_S2_S2_S2_S2_S2_S2_S2_S2_S2_S2_S2_S2_S2_S2_S2_S2_S2_S2_S2_S2_S2_S2_S2_S2_S2_S2_S2_S2_S2_Plll.numbered_sgpr, 76
	.set _ZN8rajaperf4apps9matvec_3dILm256EEEvPdS2_S2_S2_S2_S2_S2_S2_S2_S2_S2_S2_S2_S2_S2_S2_S2_S2_S2_S2_S2_S2_S2_S2_S2_S2_S2_S2_S2_S2_S2_S2_S2_S2_S2_S2_S2_S2_S2_S2_S2_S2_S2_S2_S2_S2_S2_S2_S2_S2_S2_S2_S2_S2_S2_Plll.num_named_barrier, 0
	.set _ZN8rajaperf4apps9matvec_3dILm256EEEvPdS2_S2_S2_S2_S2_S2_S2_S2_S2_S2_S2_S2_S2_S2_S2_S2_S2_S2_S2_S2_S2_S2_S2_S2_S2_S2_S2_S2_S2_S2_S2_S2_S2_S2_S2_S2_S2_S2_S2_S2_S2_S2_S2_S2_S2_S2_S2_S2_S2_S2_S2_S2_S2_S2_Plll.private_seg_size, 0
	.set _ZN8rajaperf4apps9matvec_3dILm256EEEvPdS2_S2_S2_S2_S2_S2_S2_S2_S2_S2_S2_S2_S2_S2_S2_S2_S2_S2_S2_S2_S2_S2_S2_S2_S2_S2_S2_S2_S2_S2_S2_S2_S2_S2_S2_S2_S2_S2_S2_S2_S2_S2_S2_S2_S2_S2_S2_S2_S2_S2_S2_S2_S2_S2_Plll.uses_vcc, 1
	.set _ZN8rajaperf4apps9matvec_3dILm256EEEvPdS2_S2_S2_S2_S2_S2_S2_S2_S2_S2_S2_S2_S2_S2_S2_S2_S2_S2_S2_S2_S2_S2_S2_S2_S2_S2_S2_S2_S2_S2_S2_S2_S2_S2_S2_S2_S2_S2_S2_S2_S2_S2_S2_S2_S2_S2_S2_S2_S2_S2_S2_S2_S2_S2_Plll.uses_flat_scratch, 0
	.set _ZN8rajaperf4apps9matvec_3dILm256EEEvPdS2_S2_S2_S2_S2_S2_S2_S2_S2_S2_S2_S2_S2_S2_S2_S2_S2_S2_S2_S2_S2_S2_S2_S2_S2_S2_S2_S2_S2_S2_S2_S2_S2_S2_S2_S2_S2_S2_S2_S2_S2_S2_S2_S2_S2_S2_S2_S2_S2_S2_S2_S2_S2_S2_Plll.has_dyn_sized_stack, 0
	.set _ZN8rajaperf4apps9matvec_3dILm256EEEvPdS2_S2_S2_S2_S2_S2_S2_S2_S2_S2_S2_S2_S2_S2_S2_S2_S2_S2_S2_S2_S2_S2_S2_S2_S2_S2_S2_S2_S2_S2_S2_S2_S2_S2_S2_S2_S2_S2_S2_S2_S2_S2_S2_S2_S2_S2_S2_S2_S2_S2_S2_S2_S2_S2_Plll.has_recursion, 0
	.set _ZN8rajaperf4apps9matvec_3dILm256EEEvPdS2_S2_S2_S2_S2_S2_S2_S2_S2_S2_S2_S2_S2_S2_S2_S2_S2_S2_S2_S2_S2_S2_S2_S2_S2_S2_S2_S2_S2_S2_S2_S2_S2_S2_S2_S2_S2_S2_S2_S2_S2_S2_S2_S2_S2_S2_S2_S2_S2_S2_S2_S2_S2_S2_Plll.has_indirect_call, 0
	.section	.AMDGPU.csdata,"",@progbits
; Kernel info:
; codeLenInByte = 2320
; TotalNumSgprs: 78
; NumVgprs: 40
; ScratchSize: 0
; MemoryBound: 1
; FloatMode: 240
; IeeeMode: 1
; LDSByteSize: 0 bytes/workgroup (compile time only)
; SGPRBlocks: 0
; VGPRBlocks: 4
; NumSGPRsForWavesPerEU: 78
; NumVGPRsForWavesPerEU: 40
; Occupancy: 16
; WaveLimiterHint : 1
; COMPUTE_PGM_RSRC2:SCRATCH_EN: 0
; COMPUTE_PGM_RSRC2:USER_SGPR: 2
; COMPUTE_PGM_RSRC2:TRAP_HANDLER: 0
; COMPUTE_PGM_RSRC2:TGID_X_EN: 1
; COMPUTE_PGM_RSRC2:TGID_Y_EN: 0
; COMPUTE_PGM_RSRC2:TGID_Z_EN: 0
; COMPUTE_PGM_RSRC2:TIDIG_COMP_CNT: 0
	.section	.text._ZN4RAJA6policy3hip4impl18forallp_hip_kernelINS1_8hip_execINS_17iteration_mapping6DirectENS_3hip11IndexGlobalILNS_9named_dimE0ELi256ELi0EEENS7_40AvoidDeviceMaxThreadOccupancyConcretizerINS7_34FractionOffsetOccupancyConcretizerINS_8FractionImLm1ELm1EEELln1EEEEELb1EEEPlZN8rajaperf4apps17MATVEC_3D_STENCIL17runHipVariantImplILm256EEEvNSJ_9VariantIDEEUllE_lNS_4expt15ForallParamPackIJEEES6_SA_TnNSt9enable_ifIXaasr3std10is_base_ofINS5_10DirectBaseET4_EE5valuegtsrT5_10block_sizeLi0EEmE4typeELm256EEEvT1_T0_T2_T3_,"axG",@progbits,_ZN4RAJA6policy3hip4impl18forallp_hip_kernelINS1_8hip_execINS_17iteration_mapping6DirectENS_3hip11IndexGlobalILNS_9named_dimE0ELi256ELi0EEENS7_40AvoidDeviceMaxThreadOccupancyConcretizerINS7_34FractionOffsetOccupancyConcretizerINS_8FractionImLm1ELm1EEELln1EEEEELb1EEEPlZN8rajaperf4apps17MATVEC_3D_STENCIL17runHipVariantImplILm256EEEvNSJ_9VariantIDEEUllE_lNS_4expt15ForallParamPackIJEEES6_SA_TnNSt9enable_ifIXaasr3std10is_base_ofINS5_10DirectBaseET4_EE5valuegtsrT5_10block_sizeLi0EEmE4typeELm256EEEvT1_T0_T2_T3_,comdat
	.protected	_ZN4RAJA6policy3hip4impl18forallp_hip_kernelINS1_8hip_execINS_17iteration_mapping6DirectENS_3hip11IndexGlobalILNS_9named_dimE0ELi256ELi0EEENS7_40AvoidDeviceMaxThreadOccupancyConcretizerINS7_34FractionOffsetOccupancyConcretizerINS_8FractionImLm1ELm1EEELln1EEEEELb1EEEPlZN8rajaperf4apps17MATVEC_3D_STENCIL17runHipVariantImplILm256EEEvNSJ_9VariantIDEEUllE_lNS_4expt15ForallParamPackIJEEES6_SA_TnNSt9enable_ifIXaasr3std10is_base_ofINS5_10DirectBaseET4_EE5valuegtsrT5_10block_sizeLi0EEmE4typeELm256EEEvT1_T0_T2_T3_ ; -- Begin function _ZN4RAJA6policy3hip4impl18forallp_hip_kernelINS1_8hip_execINS_17iteration_mapping6DirectENS_3hip11IndexGlobalILNS_9named_dimE0ELi256ELi0EEENS7_40AvoidDeviceMaxThreadOccupancyConcretizerINS7_34FractionOffsetOccupancyConcretizerINS_8FractionImLm1ELm1EEELln1EEEEELb1EEEPlZN8rajaperf4apps17MATVEC_3D_STENCIL17runHipVariantImplILm256EEEvNSJ_9VariantIDEEUllE_lNS_4expt15ForallParamPackIJEEES6_SA_TnNSt9enable_ifIXaasr3std10is_base_ofINS5_10DirectBaseET4_EE5valuegtsrT5_10block_sizeLi0EEmE4typeELm256EEEvT1_T0_T2_T3_
	.globl	_ZN4RAJA6policy3hip4impl18forallp_hip_kernelINS1_8hip_execINS_17iteration_mapping6DirectENS_3hip11IndexGlobalILNS_9named_dimE0ELi256ELi0EEENS7_40AvoidDeviceMaxThreadOccupancyConcretizerINS7_34FractionOffsetOccupancyConcretizerINS_8FractionImLm1ELm1EEELln1EEEEELb1EEEPlZN8rajaperf4apps17MATVEC_3D_STENCIL17runHipVariantImplILm256EEEvNSJ_9VariantIDEEUllE_lNS_4expt15ForallParamPackIJEEES6_SA_TnNSt9enable_ifIXaasr3std10is_base_ofINS5_10DirectBaseET4_EE5valuegtsrT5_10block_sizeLi0EEmE4typeELm256EEEvT1_T0_T2_T3_
	.p2align	8
	.type	_ZN4RAJA6policy3hip4impl18forallp_hip_kernelINS1_8hip_execINS_17iteration_mapping6DirectENS_3hip11IndexGlobalILNS_9named_dimE0ELi256ELi0EEENS7_40AvoidDeviceMaxThreadOccupancyConcretizerINS7_34FractionOffsetOccupancyConcretizerINS_8FractionImLm1ELm1EEELln1EEEEELb1EEEPlZN8rajaperf4apps17MATVEC_3D_STENCIL17runHipVariantImplILm256EEEvNSJ_9VariantIDEEUllE_lNS_4expt15ForallParamPackIJEEES6_SA_TnNSt9enable_ifIXaasr3std10is_base_ofINS5_10DirectBaseET4_EE5valuegtsrT5_10block_sizeLi0EEmE4typeELm256EEEvT1_T0_T2_T3_,@function
_ZN4RAJA6policy3hip4impl18forallp_hip_kernelINS1_8hip_execINS_17iteration_mapping6DirectENS_3hip11IndexGlobalILNS_9named_dimE0ELi256ELi0EEENS7_40AvoidDeviceMaxThreadOccupancyConcretizerINS7_34FractionOffsetOccupancyConcretizerINS_8FractionImLm1ELm1EEELln1EEEEELb1EEEPlZN8rajaperf4apps17MATVEC_3D_STENCIL17runHipVariantImplILm256EEEvNSJ_9VariantIDEEUllE_lNS_4expt15ForallParamPackIJEEES6_SA_TnNSt9enable_ifIXaasr3std10is_base_ofINS5_10DirectBaseET4_EE5valuegtsrT5_10block_sizeLi0EEmE4typeELm256EEEvT1_T0_T2_T3_: ; @_ZN4RAJA6policy3hip4impl18forallp_hip_kernelINS1_8hip_execINS_17iteration_mapping6DirectENS_3hip11IndexGlobalILNS_9named_dimE0ELi256ELi0EEENS7_40AvoidDeviceMaxThreadOccupancyConcretizerINS7_34FractionOffsetOccupancyConcretizerINS_8FractionImLm1ELm1EEELln1EEEEELb1EEEPlZN8rajaperf4apps17MATVEC_3D_STENCIL17runHipVariantImplILm256EEEvNSJ_9VariantIDEEUllE_lNS_4expt15ForallParamPackIJEEES6_SA_TnNSt9enable_ifIXaasr3std10is_base_ofINS5_10DirectBaseET4_EE5valuegtsrT5_10block_sizeLi0EEmE4typeELm256EEEvT1_T0_T2_T3_
; %bb.0:
	s_load_b128 s[4:7], s[0:1], 0x1b8
	s_mov_b32 s2, ttmp9
	s_mov_b32 s3, 0
	s_delay_alu instid0(SALU_CYCLE_1) | instskip(NEXT) | instid1(SALU_CYCLE_1)
	s_lshl_b64 s[2:3], s[2:3], 8
	v_or_b32_e32 v0, s2, v0
	v_mov_b32_e32 v1, s3
	s_mov_b32 s2, exec_lo
	s_wait_kmcnt 0x0
	s_delay_alu instid0(VALU_DEP_1)
	v_cmpx_gt_i64_e64 s[6:7], v[0:1]
	s_cbranch_execz .LBB1_2
; %bb.1:
	v_lshlrev_b64_e32 v[0:1], 3, v[0:1]
	s_load_b512 s[40:55], s[0:1], 0x40
	s_delay_alu instid0(VALU_DEP_1) | instskip(NEXT) | instid1(VALU_DEP_1)
	v_add_co_u32 v0, vcc_lo, s4, v0
	v_add_co_ci_u32_e64 v1, null, s5, v1, vcc_lo
	s_load_b512 s[4:19], s[0:1], 0x0
	global_load_b64 v[0:1], v[0:1], off
	s_wait_loadcnt 0x0
	v_lshlrev_b64_e32 v[0:1], 3, v[0:1]
	s_wait_kmcnt 0x0
	s_delay_alu instid0(VALU_DEP_1) | instskip(SKIP_1) | instid1(VALU_DEP_2)
	v_add_co_u32 v2, vcc_lo, s10, v0
	s_wait_alu 0xfffd
	v_add_co_ci_u32_e64 v3, null, s11, v1, vcc_lo
	v_add_co_u32 v4, vcc_lo, s12, v0
	s_wait_alu 0xfffd
	v_add_co_ci_u32_e64 v5, null, s13, v1, vcc_lo
	global_load_b64 v[2:3], v[2:3], off
	global_load_b64 v[4:5], v[4:5], off
	v_add_co_u32 v6, vcc_lo, s6, v0
	s_wait_alu 0xfffd
	v_add_co_ci_u32_e64 v7, null, s7, v1, vcc_lo
	v_add_co_u32 v8, vcc_lo, s8, v0
	s_wait_alu 0xfffd
	v_add_co_ci_u32_e64 v9, null, s9, v1, vcc_lo
	global_load_b64 v[6:7], v[6:7], off
	global_load_b64 v[8:9], v[8:9], off
	;; [unrolled: 8-line block ×7, first 2 shown]
	s_load_b512 s[36:51], s[0:1], 0x80
	v_add_co_u32 v30, vcc_lo, s54, v0
	s_wait_alu 0xfffd
	v_add_co_ci_u32_e64 v31, null, s55, v1, vcc_lo
	s_load_b512 s[16:31], s[0:1], 0xc0
	s_wait_kmcnt 0x0
	v_add_co_u32 v32, vcc_lo, s36, v0
	s_wait_alu 0xfffd
	v_add_co_ci_u32_e64 v33, null, s37, v1, vcc_lo
	global_load_b64 v[30:31], v[30:31], off
	global_load_b64 v[32:33], v[32:33], off
	v_add_co_u32 v34, vcc_lo, s38, v0
	s_wait_alu 0xfffd
	v_add_co_ci_u32_e64 v35, null, s39, v1, vcc_lo
	v_add_co_u32 v36, vcc_lo, s40, v0
	s_wait_alu 0xfffd
	v_add_co_ci_u32_e64 v37, null, s41, v1, vcc_lo
	global_load_b64 v[34:35], v[34:35], off
	global_load_b64 v[36:37], v[36:37], off
	s_wait_loadcnt 0x10
	v_mul_f64_e32 v[2:3], v[2:3], v[4:5]
	v_add_co_u32 v4, vcc_lo, s42, v0
	s_wait_alu 0xfffd
	v_add_co_ci_u32_e64 v5, null, s43, v1, vcc_lo
	v_add_co_u32 v38, vcc_lo, s44, v0
	s_wait_alu 0xfffd
	v_add_co_ci_u32_e64 v39, null, s45, v1, vcc_lo
	global_load_b64 v[4:5], v[4:5], off
	global_load_b64 v[38:39], v[38:39], off
	s_wait_loadcnt 0x10
	v_fma_f64 v[2:3], v[6:7], v[8:9], v[2:3]
	v_add_co_u32 v6, vcc_lo, s46, v0
	s_wait_alu 0xfffd
	v_add_co_ci_u32_e64 v7, null, s47, v1, vcc_lo
	v_add_co_u32 v8, vcc_lo, s48, v0
	s_wait_alu 0xfffd
	v_add_co_ci_u32_e64 v9, null, s49, v1, vcc_lo
	global_load_b64 v[6:7], v[6:7], off
	global_load_b64 v[8:9], v[8:9], off
	s_wait_loadcnt 0x10
	v_fma_f64 v[2:3], v[10:11], v[12:13], v[2:3]
	;; [unrolled: 10-line block ×5, first 2 shown]
	v_add_co_u32 v22, vcc_lo, s26, v0
	s_wait_alu 0xfffd
	v_add_co_ci_u32_e64 v23, null, s27, v1, vcc_lo
	v_add_co_u32 v24, vcc_lo, s28, v0
	s_wait_alu 0xfffd
	v_add_co_ci_u32_e64 v25, null, s29, v1, vcc_lo
	global_load_b64 v[22:23], v[22:23], off
	global_load_b64 v[24:25], v[24:25], off
	s_load_b512 s[12:27], s[0:1], 0x100
	s_wait_loadcnt 0x10
	v_fma_f64 v[2:3], v[26:27], v[28:29], v[2:3]
	v_add_co_u32 v26, vcc_lo, s30, v0
	s_wait_alu 0xfffd
	v_add_co_ci_u32_e64 v27, null, s31, v1, vcc_lo
	s_wait_kmcnt 0x0
	v_add_co_u32 v28, vcc_lo, s12, v0
	s_wait_alu 0xfffd
	v_add_co_ci_u32_e64 v29, null, s13, v1, vcc_lo
	global_load_b64 v[26:27], v[26:27], off
	global_load_b64 v[28:29], v[28:29], off
	s_wait_loadcnt 0x10
	v_fma_f64 v[2:3], v[30:31], v[32:33], v[2:3]
	v_add_co_u32 v30, vcc_lo, s14, v0
	s_wait_alu 0xfffd
	v_add_co_ci_u32_e64 v31, null, s15, v1, vcc_lo
	v_add_co_u32 v32, vcc_lo, s16, v0
	s_wait_alu 0xfffd
	v_add_co_ci_u32_e64 v33, null, s17, v1, vcc_lo
	global_load_b64 v[30:31], v[30:31], off
	global_load_b64 v[32:33], v[32:33], off
	s_wait_loadcnt 0x10
	v_fma_f64 v[2:3], v[34:35], v[36:37], v[2:3]
	v_add_co_u32 v34, vcc_lo, s18, v0
	s_wait_alu 0xfffd
	v_add_co_ci_u32_e64 v35, null, s19, v1, vcc_lo
	;; [unrolled: 10-line block ×3, first 2 shown]
	v_add_co_u32 v38, vcc_lo, s24, v0
	s_wait_alu 0xfffd
	v_add_co_ci_u32_e64 v39, null, s25, v1, vcc_lo
	global_load_b64 v[4:5], v[4:5], off
	global_load_b64 v[38:39], v[38:39], off
	s_load_b512 s[8:23], s[0:1], 0x140
	s_wait_loadcnt 0x10
	v_fma_f64 v[2:3], v[6:7], v[8:9], v[2:3]
	v_add_co_u32 v6, vcc_lo, s26, v0
	s_wait_alu 0xfffd
	v_add_co_ci_u32_e64 v7, null, s27, v1, vcc_lo
	s_wait_kmcnt 0x0
	v_add_co_u32 v8, vcc_lo, s8, v0
	s_wait_alu 0xfffd
	v_add_co_ci_u32_e64 v9, null, s9, v1, vcc_lo
	global_load_b64 v[6:7], v[6:7], off
	global_load_b64 v[8:9], v[8:9], off
	s_wait_loadcnt 0x10
	v_fma_f64 v[2:3], v[10:11], v[12:13], v[2:3]
	v_add_co_u32 v10, vcc_lo, s10, v0
	s_wait_alu 0xfffd
	v_add_co_ci_u32_e64 v11, null, s11, v1, vcc_lo
	v_add_co_u32 v12, vcc_lo, s12, v0
	s_wait_alu 0xfffd
	v_add_co_ci_u32_e64 v13, null, s13, v1, vcc_lo
	global_load_b64 v[10:11], v[10:11], off
	global_load_b64 v[12:13], v[12:13], off
	s_wait_loadcnt 0x10
	v_fma_f64 v[2:3], v[14:15], v[16:17], v[2:3]
	v_add_co_u32 v14, vcc_lo, s14, v0
	s_wait_alu 0xfffd
	v_add_co_ci_u32_e64 v15, null, s15, v1, vcc_lo
	v_add_co_u32 v16, vcc_lo, s16, v0
	s_wait_alu 0xfffd
	v_add_co_ci_u32_e64 v17, null, s17, v1, vcc_lo
	global_load_b64 v[14:15], v[14:15], off
	global_load_b64 v[16:17], v[16:17], off
	s_load_b256 s[8:15], s[0:1], 0x180
	s_wait_loadcnt 0x10
	v_fma_f64 v[2:3], v[18:19], v[20:21], v[2:3]
	v_add_co_u32 v18, vcc_lo, s18, v0
	s_wait_alu 0xfffd
	v_add_co_ci_u32_e64 v19, null, s19, v1, vcc_lo
	v_add_co_u32 v20, vcc_lo, s20, v0
	s_wait_alu 0xfffd
	v_add_co_ci_u32_e64 v21, null, s21, v1, vcc_lo
	global_load_b64 v[18:19], v[18:19], off
	global_load_b64 v[20:21], v[20:21], off
	s_wait_loadcnt 0x10
	v_fma_f64 v[2:3], v[22:23], v[24:25], v[2:3]
	v_add_co_u32 v22, vcc_lo, s22, v0
	s_wait_alu 0xfffd
	v_add_co_ci_u32_e64 v23, null, s23, v1, vcc_lo
	s_wait_kmcnt 0x0
	v_add_co_u32 v24, vcc_lo, s8, v0
	s_wait_alu 0xfffd
	v_add_co_ci_u32_e64 v25, null, s9, v1, vcc_lo
	global_load_b64 v[22:23], v[22:23], off
	global_load_b64 v[24:25], v[24:25], off
	s_wait_loadcnt 0x10
	v_fma_f64 v[2:3], v[26:27], v[28:29], v[2:3]
	v_add_co_u32 v26, vcc_lo, s10, v0
	s_wait_alu 0xfffd
	v_add_co_ci_u32_e64 v27, null, s11, v1, vcc_lo
	v_add_co_u32 v28, vcc_lo, s12, v0
	s_wait_alu 0xfffd
	v_add_co_ci_u32_e64 v29, null, s13, v1, vcc_lo
	global_load_b64 v[26:27], v[26:27], off
	global_load_b64 v[28:29], v[28:29], off
	s_clause 0x1
	s_load_b128 s[8:11], s[0:1], 0x1a0
	s_load_b64 s[0:1], s[0:1], 0x1b0
	s_wait_loadcnt 0x10
	v_fma_f64 v[2:3], v[30:31], v[32:33], v[2:3]
	v_add_co_u32 v30, vcc_lo, s14, v0
	s_wait_alu 0xfffd
	v_add_co_ci_u32_e64 v31, null, s15, v1, vcc_lo
	s_wait_kmcnt 0x0
	v_add_co_u32 v32, vcc_lo, s8, v0
	s_wait_alu 0xfffd
	v_add_co_ci_u32_e64 v33, null, s9, v1, vcc_lo
	global_load_b64 v[30:31], v[30:31], off
	global_load_b64 v[32:33], v[32:33], off
	s_wait_loadcnt 0x10
	v_fma_f64 v[2:3], v[34:35], v[36:37], v[2:3]
	v_add_co_u32 v34, vcc_lo, s10, v0
	s_wait_alu 0xfffd
	v_add_co_ci_u32_e64 v35, null, s11, v1, vcc_lo
	v_add_co_u32 v36, vcc_lo, s0, v0
	s_wait_alu 0xfffd
	v_add_co_ci_u32_e64 v37, null, s1, v1, vcc_lo
	global_load_b64 v[34:35], v[34:35], off
	global_load_b64 v[36:37], v[36:37], off
	v_add_co_u32 v0, vcc_lo, s4, v0
	s_wait_alu 0xfffd
	v_add_co_ci_u32_e64 v1, null, s5, v1, vcc_lo
	s_wait_loadcnt 0x10
	v_fma_f64 v[2:3], v[4:5], v[38:39], v[2:3]
	s_wait_loadcnt 0xe
	s_delay_alu instid0(VALU_DEP_1) | instskip(SKIP_1) | instid1(VALU_DEP_1)
	v_fma_f64 v[2:3], v[6:7], v[8:9], v[2:3]
	s_wait_loadcnt 0xc
	v_fma_f64 v[2:3], v[10:11], v[12:13], v[2:3]
	s_wait_loadcnt 0xa
	s_delay_alu instid0(VALU_DEP_1) | instskip(SKIP_1) | instid1(VALU_DEP_1)
	v_fma_f64 v[2:3], v[14:15], v[16:17], v[2:3]
	;; [unrolled: 5-line block ×4, first 2 shown]
	s_wait_loadcnt 0x0
	v_fma_f64 v[2:3], v[34:35], v[36:37], v[2:3]
	global_store_b64 v[0:1], v[2:3], off
.LBB1_2:
	s_endpgm
	.section	.rodata,"a",@progbits
	.p2align	6, 0x0
	.amdhsa_kernel _ZN4RAJA6policy3hip4impl18forallp_hip_kernelINS1_8hip_execINS_17iteration_mapping6DirectENS_3hip11IndexGlobalILNS_9named_dimE0ELi256ELi0EEENS7_40AvoidDeviceMaxThreadOccupancyConcretizerINS7_34FractionOffsetOccupancyConcretizerINS_8FractionImLm1ELm1EEELln1EEEEELb1EEEPlZN8rajaperf4apps17MATVEC_3D_STENCIL17runHipVariantImplILm256EEEvNSJ_9VariantIDEEUllE_lNS_4expt15ForallParamPackIJEEES6_SA_TnNSt9enable_ifIXaasr3std10is_base_ofINS5_10DirectBaseET4_EE5valuegtsrT5_10block_sizeLi0EEmE4typeELm256EEEvT1_T0_T2_T3_
		.amdhsa_group_segment_fixed_size 0
		.amdhsa_private_segment_fixed_size 0
		.amdhsa_kernarg_size 460
		.amdhsa_user_sgpr_count 2
		.amdhsa_user_sgpr_dispatch_ptr 0
		.amdhsa_user_sgpr_queue_ptr 0
		.amdhsa_user_sgpr_kernarg_segment_ptr 1
		.amdhsa_user_sgpr_dispatch_id 0
		.amdhsa_user_sgpr_private_segment_size 0
		.amdhsa_wavefront_size32 1
		.amdhsa_uses_dynamic_stack 0
		.amdhsa_enable_private_segment 0
		.amdhsa_system_sgpr_workgroup_id_x 1
		.amdhsa_system_sgpr_workgroup_id_y 0
		.amdhsa_system_sgpr_workgroup_id_z 0
		.amdhsa_system_sgpr_workgroup_info 0
		.amdhsa_system_vgpr_workitem_id 0
		.amdhsa_next_free_vgpr 40
		.amdhsa_next_free_sgpr 56
		.amdhsa_reserve_vcc 1
		.amdhsa_float_round_mode_32 0
		.amdhsa_float_round_mode_16_64 0
		.amdhsa_float_denorm_mode_32 3
		.amdhsa_float_denorm_mode_16_64 3
		.amdhsa_fp16_overflow 0
		.amdhsa_workgroup_processor_mode 1
		.amdhsa_memory_ordered 1
		.amdhsa_forward_progress 1
		.amdhsa_inst_pref_size 18
		.amdhsa_round_robin_scheduling 0
		.amdhsa_exception_fp_ieee_invalid_op 0
		.amdhsa_exception_fp_denorm_src 0
		.amdhsa_exception_fp_ieee_div_zero 0
		.amdhsa_exception_fp_ieee_overflow 0
		.amdhsa_exception_fp_ieee_underflow 0
		.amdhsa_exception_fp_ieee_inexact 0
		.amdhsa_exception_int_div_zero 0
	.end_amdhsa_kernel
	.section	.text._ZN4RAJA6policy3hip4impl18forallp_hip_kernelINS1_8hip_execINS_17iteration_mapping6DirectENS_3hip11IndexGlobalILNS_9named_dimE0ELi256ELi0EEENS7_40AvoidDeviceMaxThreadOccupancyConcretizerINS7_34FractionOffsetOccupancyConcretizerINS_8FractionImLm1ELm1EEELln1EEEEELb1EEEPlZN8rajaperf4apps17MATVEC_3D_STENCIL17runHipVariantImplILm256EEEvNSJ_9VariantIDEEUllE_lNS_4expt15ForallParamPackIJEEES6_SA_TnNSt9enable_ifIXaasr3std10is_base_ofINS5_10DirectBaseET4_EE5valuegtsrT5_10block_sizeLi0EEmE4typeELm256EEEvT1_T0_T2_T3_,"axG",@progbits,_ZN4RAJA6policy3hip4impl18forallp_hip_kernelINS1_8hip_execINS_17iteration_mapping6DirectENS_3hip11IndexGlobalILNS_9named_dimE0ELi256ELi0EEENS7_40AvoidDeviceMaxThreadOccupancyConcretizerINS7_34FractionOffsetOccupancyConcretizerINS_8FractionImLm1ELm1EEELln1EEEEELb1EEEPlZN8rajaperf4apps17MATVEC_3D_STENCIL17runHipVariantImplILm256EEEvNSJ_9VariantIDEEUllE_lNS_4expt15ForallParamPackIJEEES6_SA_TnNSt9enable_ifIXaasr3std10is_base_ofINS5_10DirectBaseET4_EE5valuegtsrT5_10block_sizeLi0EEmE4typeELm256EEEvT1_T0_T2_T3_,comdat
.Lfunc_end1:
	.size	_ZN4RAJA6policy3hip4impl18forallp_hip_kernelINS1_8hip_execINS_17iteration_mapping6DirectENS_3hip11IndexGlobalILNS_9named_dimE0ELi256ELi0EEENS7_40AvoidDeviceMaxThreadOccupancyConcretizerINS7_34FractionOffsetOccupancyConcretizerINS_8FractionImLm1ELm1EEELln1EEEEELb1EEEPlZN8rajaperf4apps17MATVEC_3D_STENCIL17runHipVariantImplILm256EEEvNSJ_9VariantIDEEUllE_lNS_4expt15ForallParamPackIJEEES6_SA_TnNSt9enable_ifIXaasr3std10is_base_ofINS5_10DirectBaseET4_EE5valuegtsrT5_10block_sizeLi0EEmE4typeELm256EEEvT1_T0_T2_T3_, .Lfunc_end1-_ZN4RAJA6policy3hip4impl18forallp_hip_kernelINS1_8hip_execINS_17iteration_mapping6DirectENS_3hip11IndexGlobalILNS_9named_dimE0ELi256ELi0EEENS7_40AvoidDeviceMaxThreadOccupancyConcretizerINS7_34FractionOffsetOccupancyConcretizerINS_8FractionImLm1ELm1EEELln1EEEEELb1EEEPlZN8rajaperf4apps17MATVEC_3D_STENCIL17runHipVariantImplILm256EEEvNSJ_9VariantIDEEUllE_lNS_4expt15ForallParamPackIJEEES6_SA_TnNSt9enable_ifIXaasr3std10is_base_ofINS5_10DirectBaseET4_EE5valuegtsrT5_10block_sizeLi0EEmE4typeELm256EEEvT1_T0_T2_T3_
                                        ; -- End function
	.set _ZN4RAJA6policy3hip4impl18forallp_hip_kernelINS1_8hip_execINS_17iteration_mapping6DirectENS_3hip11IndexGlobalILNS_9named_dimE0ELi256ELi0EEENS7_40AvoidDeviceMaxThreadOccupancyConcretizerINS7_34FractionOffsetOccupancyConcretizerINS_8FractionImLm1ELm1EEELln1EEEEELb1EEEPlZN8rajaperf4apps17MATVEC_3D_STENCIL17runHipVariantImplILm256EEEvNSJ_9VariantIDEEUllE_lNS_4expt15ForallParamPackIJEEES6_SA_TnNSt9enable_ifIXaasr3std10is_base_ofINS5_10DirectBaseET4_EE5valuegtsrT5_10block_sizeLi0EEmE4typeELm256EEEvT1_T0_T2_T3_.num_vgpr, 40
	.set _ZN4RAJA6policy3hip4impl18forallp_hip_kernelINS1_8hip_execINS_17iteration_mapping6DirectENS_3hip11IndexGlobalILNS_9named_dimE0ELi256ELi0EEENS7_40AvoidDeviceMaxThreadOccupancyConcretizerINS7_34FractionOffsetOccupancyConcretizerINS_8FractionImLm1ELm1EEELln1EEEEELb1EEEPlZN8rajaperf4apps17MATVEC_3D_STENCIL17runHipVariantImplILm256EEEvNSJ_9VariantIDEEUllE_lNS_4expt15ForallParamPackIJEEES6_SA_TnNSt9enable_ifIXaasr3std10is_base_ofINS5_10DirectBaseET4_EE5valuegtsrT5_10block_sizeLi0EEmE4typeELm256EEEvT1_T0_T2_T3_.num_agpr, 0
	.set _ZN4RAJA6policy3hip4impl18forallp_hip_kernelINS1_8hip_execINS_17iteration_mapping6DirectENS_3hip11IndexGlobalILNS_9named_dimE0ELi256ELi0EEENS7_40AvoidDeviceMaxThreadOccupancyConcretizerINS7_34FractionOffsetOccupancyConcretizerINS_8FractionImLm1ELm1EEELln1EEEEELb1EEEPlZN8rajaperf4apps17MATVEC_3D_STENCIL17runHipVariantImplILm256EEEvNSJ_9VariantIDEEUllE_lNS_4expt15ForallParamPackIJEEES6_SA_TnNSt9enable_ifIXaasr3std10is_base_ofINS5_10DirectBaseET4_EE5valuegtsrT5_10block_sizeLi0EEmE4typeELm256EEEvT1_T0_T2_T3_.numbered_sgpr, 56
	.set _ZN4RAJA6policy3hip4impl18forallp_hip_kernelINS1_8hip_execINS_17iteration_mapping6DirectENS_3hip11IndexGlobalILNS_9named_dimE0ELi256ELi0EEENS7_40AvoidDeviceMaxThreadOccupancyConcretizerINS7_34FractionOffsetOccupancyConcretizerINS_8FractionImLm1ELm1EEELln1EEEEELb1EEEPlZN8rajaperf4apps17MATVEC_3D_STENCIL17runHipVariantImplILm256EEEvNSJ_9VariantIDEEUllE_lNS_4expt15ForallParamPackIJEEES6_SA_TnNSt9enable_ifIXaasr3std10is_base_ofINS5_10DirectBaseET4_EE5valuegtsrT5_10block_sizeLi0EEmE4typeELm256EEEvT1_T0_T2_T3_.num_named_barrier, 0
	.set _ZN4RAJA6policy3hip4impl18forallp_hip_kernelINS1_8hip_execINS_17iteration_mapping6DirectENS_3hip11IndexGlobalILNS_9named_dimE0ELi256ELi0EEENS7_40AvoidDeviceMaxThreadOccupancyConcretizerINS7_34FractionOffsetOccupancyConcretizerINS_8FractionImLm1ELm1EEELln1EEEEELb1EEEPlZN8rajaperf4apps17MATVEC_3D_STENCIL17runHipVariantImplILm256EEEvNSJ_9VariantIDEEUllE_lNS_4expt15ForallParamPackIJEEES6_SA_TnNSt9enable_ifIXaasr3std10is_base_ofINS5_10DirectBaseET4_EE5valuegtsrT5_10block_sizeLi0EEmE4typeELm256EEEvT1_T0_T2_T3_.private_seg_size, 0
	.set _ZN4RAJA6policy3hip4impl18forallp_hip_kernelINS1_8hip_execINS_17iteration_mapping6DirectENS_3hip11IndexGlobalILNS_9named_dimE0ELi256ELi0EEENS7_40AvoidDeviceMaxThreadOccupancyConcretizerINS7_34FractionOffsetOccupancyConcretizerINS_8FractionImLm1ELm1EEELln1EEEEELb1EEEPlZN8rajaperf4apps17MATVEC_3D_STENCIL17runHipVariantImplILm256EEEvNSJ_9VariantIDEEUllE_lNS_4expt15ForallParamPackIJEEES6_SA_TnNSt9enable_ifIXaasr3std10is_base_ofINS5_10DirectBaseET4_EE5valuegtsrT5_10block_sizeLi0EEmE4typeELm256EEEvT1_T0_T2_T3_.uses_vcc, 1
	.set _ZN4RAJA6policy3hip4impl18forallp_hip_kernelINS1_8hip_execINS_17iteration_mapping6DirectENS_3hip11IndexGlobalILNS_9named_dimE0ELi256ELi0EEENS7_40AvoidDeviceMaxThreadOccupancyConcretizerINS7_34FractionOffsetOccupancyConcretizerINS_8FractionImLm1ELm1EEELln1EEEEELb1EEEPlZN8rajaperf4apps17MATVEC_3D_STENCIL17runHipVariantImplILm256EEEvNSJ_9VariantIDEEUllE_lNS_4expt15ForallParamPackIJEEES6_SA_TnNSt9enable_ifIXaasr3std10is_base_ofINS5_10DirectBaseET4_EE5valuegtsrT5_10block_sizeLi0EEmE4typeELm256EEEvT1_T0_T2_T3_.uses_flat_scratch, 0
	.set _ZN4RAJA6policy3hip4impl18forallp_hip_kernelINS1_8hip_execINS_17iteration_mapping6DirectENS_3hip11IndexGlobalILNS_9named_dimE0ELi256ELi0EEENS7_40AvoidDeviceMaxThreadOccupancyConcretizerINS7_34FractionOffsetOccupancyConcretizerINS_8FractionImLm1ELm1EEELln1EEEEELb1EEEPlZN8rajaperf4apps17MATVEC_3D_STENCIL17runHipVariantImplILm256EEEvNSJ_9VariantIDEEUllE_lNS_4expt15ForallParamPackIJEEES6_SA_TnNSt9enable_ifIXaasr3std10is_base_ofINS5_10DirectBaseET4_EE5valuegtsrT5_10block_sizeLi0EEmE4typeELm256EEEvT1_T0_T2_T3_.has_dyn_sized_stack, 0
	.set _ZN4RAJA6policy3hip4impl18forallp_hip_kernelINS1_8hip_execINS_17iteration_mapping6DirectENS_3hip11IndexGlobalILNS_9named_dimE0ELi256ELi0EEENS7_40AvoidDeviceMaxThreadOccupancyConcretizerINS7_34FractionOffsetOccupancyConcretizerINS_8FractionImLm1ELm1EEELln1EEEEELb1EEEPlZN8rajaperf4apps17MATVEC_3D_STENCIL17runHipVariantImplILm256EEEvNSJ_9VariantIDEEUllE_lNS_4expt15ForallParamPackIJEEES6_SA_TnNSt9enable_ifIXaasr3std10is_base_ofINS5_10DirectBaseET4_EE5valuegtsrT5_10block_sizeLi0EEmE4typeELm256EEEvT1_T0_T2_T3_.has_recursion, 0
	.set _ZN4RAJA6policy3hip4impl18forallp_hip_kernelINS1_8hip_execINS_17iteration_mapping6DirectENS_3hip11IndexGlobalILNS_9named_dimE0ELi256ELi0EEENS7_40AvoidDeviceMaxThreadOccupancyConcretizerINS7_34FractionOffsetOccupancyConcretizerINS_8FractionImLm1ELm1EEELln1EEEEELb1EEEPlZN8rajaperf4apps17MATVEC_3D_STENCIL17runHipVariantImplILm256EEEvNSJ_9VariantIDEEUllE_lNS_4expt15ForallParamPackIJEEES6_SA_TnNSt9enable_ifIXaasr3std10is_base_ofINS5_10DirectBaseET4_EE5valuegtsrT5_10block_sizeLi0EEmE4typeELm256EEEvT1_T0_T2_T3_.has_indirect_call, 0
	.section	.AMDGPU.csdata,"",@progbits
; Kernel info:
; codeLenInByte = 2304
; TotalNumSgprs: 58
; NumVgprs: 40
; ScratchSize: 0
; MemoryBound: 0
; FloatMode: 240
; IeeeMode: 1
; LDSByteSize: 0 bytes/workgroup (compile time only)
; SGPRBlocks: 0
; VGPRBlocks: 4
; NumSGPRsForWavesPerEU: 58
; NumVGPRsForWavesPerEU: 40
; Occupancy: 16
; WaveLimiterHint : 1
; COMPUTE_PGM_RSRC2:SCRATCH_EN: 0
; COMPUTE_PGM_RSRC2:USER_SGPR: 2
; COMPUTE_PGM_RSRC2:TRAP_HANDLER: 0
; COMPUTE_PGM_RSRC2:TGID_X_EN: 1
; COMPUTE_PGM_RSRC2:TGID_Y_EN: 0
; COMPUTE_PGM_RSRC2:TGID_Z_EN: 0
; COMPUTE_PGM_RSRC2:TIDIG_COMP_CNT: 0
	.section	.AMDGPU.gpr_maximums,"",@progbits
	.set amdgpu.max_num_vgpr, 0
	.set amdgpu.max_num_agpr, 0
	.set amdgpu.max_num_sgpr, 0
	.section	.AMDGPU.csdata,"",@progbits
	.type	__hip_cuid_5e0c1fada7d6a1a7,@object ; @__hip_cuid_5e0c1fada7d6a1a7
	.section	.bss,"aw",@nobits
	.globl	__hip_cuid_5e0c1fada7d6a1a7
__hip_cuid_5e0c1fada7d6a1a7:
	.byte	0                               ; 0x0
	.size	__hip_cuid_5e0c1fada7d6a1a7, 1

	.ident	"AMD clang version 22.0.0git (https://github.com/RadeonOpenCompute/llvm-project roc-7.2.4 26084 f58b06dce1f9c15707c5f808fd002e18c2accf7e)"
	.section	".note.GNU-stack","",@progbits
	.addrsig
	.addrsig_sym __hip_cuid_5e0c1fada7d6a1a7
	.amdgpu_metadata
---
amdhsa.kernels:
  - .args:
      - .address_space:  global
        .offset:         0
        .size:           8
        .value_kind:     global_buffer
      - .address_space:  global
        .offset:         8
        .size:           8
        .value_kind:     global_buffer
      - .address_space:  global
        .offset:         16
        .size:           8
        .value_kind:     global_buffer
      - .address_space:  global
        .offset:         24
        .size:           8
        .value_kind:     global_buffer
      - .address_space:  global
        .offset:         32
        .size:           8
        .value_kind:     global_buffer
      - .address_space:  global
        .offset:         40
        .size:           8
        .value_kind:     global_buffer
      - .address_space:  global
        .offset:         48
        .size:           8
        .value_kind:     global_buffer
      - .address_space:  global
        .offset:         56
        .size:           8
        .value_kind:     global_buffer
      - .address_space:  global
        .offset:         64
        .size:           8
        .value_kind:     global_buffer
      - .address_space:  global
        .offset:         72
        .size:           8
        .value_kind:     global_buffer
      - .address_space:  global
        .offset:         80
        .size:           8
        .value_kind:     global_buffer
      - .address_space:  global
        .offset:         88
        .size:           8
        .value_kind:     global_buffer
      - .address_space:  global
        .offset:         96
        .size:           8
        .value_kind:     global_buffer
      - .address_space:  global
        .offset:         104
        .size:           8
        .value_kind:     global_buffer
      - .address_space:  global
        .offset:         112
        .size:           8
        .value_kind:     global_buffer
      - .address_space:  global
        .offset:         120
        .size:           8
        .value_kind:     global_buffer
      - .address_space:  global
        .offset:         128
        .size:           8
        .value_kind:     global_buffer
      - .address_space:  global
        .offset:         136
        .size:           8
        .value_kind:     global_buffer
      - .address_space:  global
        .offset:         144
        .size:           8
        .value_kind:     global_buffer
      - .address_space:  global
        .offset:         152
        .size:           8
        .value_kind:     global_buffer
      - .address_space:  global
        .offset:         160
        .size:           8
        .value_kind:     global_buffer
      - .address_space:  global
        .offset:         168
        .size:           8
        .value_kind:     global_buffer
      - .address_space:  global
        .offset:         176
        .size:           8
        .value_kind:     global_buffer
      - .address_space:  global
        .offset:         184
        .size:           8
        .value_kind:     global_buffer
      - .address_space:  global
        .offset:         192
        .size:           8
        .value_kind:     global_buffer
      - .address_space:  global
        .offset:         200
        .size:           8
        .value_kind:     global_buffer
      - .address_space:  global
        .offset:         208
        .size:           8
        .value_kind:     global_buffer
      - .address_space:  global
        .offset:         216
        .size:           8
        .value_kind:     global_buffer
      - .address_space:  global
        .offset:         224
        .size:           8
        .value_kind:     global_buffer
      - .address_space:  global
        .offset:         232
        .size:           8
        .value_kind:     global_buffer
      - .address_space:  global
        .offset:         240
        .size:           8
        .value_kind:     global_buffer
      - .address_space:  global
        .offset:         248
        .size:           8
        .value_kind:     global_buffer
      - .address_space:  global
        .offset:         256
        .size:           8
        .value_kind:     global_buffer
      - .address_space:  global
        .offset:         264
        .size:           8
        .value_kind:     global_buffer
      - .address_space:  global
        .offset:         272
        .size:           8
        .value_kind:     global_buffer
      - .address_space:  global
        .offset:         280
        .size:           8
        .value_kind:     global_buffer
      - .address_space:  global
        .offset:         288
        .size:           8
        .value_kind:     global_buffer
      - .address_space:  global
        .offset:         296
        .size:           8
        .value_kind:     global_buffer
      - .address_space:  global
        .offset:         304
        .size:           8
        .value_kind:     global_buffer
      - .address_space:  global
        .offset:         312
        .size:           8
        .value_kind:     global_buffer
      - .address_space:  global
        .offset:         320
        .size:           8
        .value_kind:     global_buffer
      - .address_space:  global
        .offset:         328
        .size:           8
        .value_kind:     global_buffer
      - .address_space:  global
        .offset:         336
        .size:           8
        .value_kind:     global_buffer
      - .address_space:  global
        .offset:         344
        .size:           8
        .value_kind:     global_buffer
      - .address_space:  global
        .offset:         352
        .size:           8
        .value_kind:     global_buffer
      - .address_space:  global
        .offset:         360
        .size:           8
        .value_kind:     global_buffer
      - .address_space:  global
        .offset:         368
        .size:           8
        .value_kind:     global_buffer
      - .address_space:  global
        .offset:         376
        .size:           8
        .value_kind:     global_buffer
      - .address_space:  global
        .offset:         384
        .size:           8
        .value_kind:     global_buffer
      - .address_space:  global
        .offset:         392
        .size:           8
        .value_kind:     global_buffer
      - .address_space:  global
        .offset:         400
        .size:           8
        .value_kind:     global_buffer
      - .address_space:  global
        .offset:         408
        .size:           8
        .value_kind:     global_buffer
      - .address_space:  global
        .offset:         416
        .size:           8
        .value_kind:     global_buffer
      - .address_space:  global
        .offset:         424
        .size:           8
        .value_kind:     global_buffer
      - .address_space:  global
        .offset:         432
        .size:           8
        .value_kind:     global_buffer
      - .address_space:  global
        .offset:         440
        .size:           8
        .value_kind:     global_buffer
      - .offset:         448
        .size:           8
        .value_kind:     by_value
      - .offset:         456
        .size:           8
        .value_kind:     by_value
      - .offset:         464
        .size:           4
        .value_kind:     hidden_block_count_x
      - .offset:         468
        .size:           4
        .value_kind:     hidden_block_count_y
      - .offset:         472
        .size:           4
        .value_kind:     hidden_block_count_z
      - .offset:         476
        .size:           2
        .value_kind:     hidden_group_size_x
      - .offset:         478
        .size:           2
        .value_kind:     hidden_group_size_y
      - .offset:         480
        .size:           2
        .value_kind:     hidden_group_size_z
      - .offset:         482
        .size:           2
        .value_kind:     hidden_remainder_x
      - .offset:         484
        .size:           2
        .value_kind:     hidden_remainder_y
      - .offset:         486
        .size:           2
        .value_kind:     hidden_remainder_z
      - .offset:         504
        .size:           8
        .value_kind:     hidden_global_offset_x
      - .offset:         512
        .size:           8
        .value_kind:     hidden_global_offset_y
      - .offset:         520
        .size:           8
        .value_kind:     hidden_global_offset_z
      - .offset:         528
        .size:           2
        .value_kind:     hidden_grid_dims
    .group_segment_fixed_size: 0
    .kernarg_segment_align: 8
    .kernarg_segment_size: 720
    .language:       OpenCL C
    .language_version:
      - 2
      - 0
    .max_flat_workgroup_size: 256
    .name:           _ZN8rajaperf4apps9matvec_3dILm256EEEvPdS2_S2_S2_S2_S2_S2_S2_S2_S2_S2_S2_S2_S2_S2_S2_S2_S2_S2_S2_S2_S2_S2_S2_S2_S2_S2_S2_S2_S2_S2_S2_S2_S2_S2_S2_S2_S2_S2_S2_S2_S2_S2_S2_S2_S2_S2_S2_S2_S2_S2_S2_S2_S2_S2_Plll
    .private_segment_fixed_size: 0
    .sgpr_count:     78
    .sgpr_spill_count: 0
    .symbol:         _ZN8rajaperf4apps9matvec_3dILm256EEEvPdS2_S2_S2_S2_S2_S2_S2_S2_S2_S2_S2_S2_S2_S2_S2_S2_S2_S2_S2_S2_S2_S2_S2_S2_S2_S2_S2_S2_S2_S2_S2_S2_S2_S2_S2_S2_S2_S2_S2_S2_S2_S2_S2_S2_S2_S2_S2_S2_S2_S2_S2_S2_S2_S2_Plll.kd
    .uniform_work_group_size: 1
    .uses_dynamic_stack: false
    .vgpr_count:     40
    .vgpr_spill_count: 0
    .wavefront_size: 32
    .workgroup_processor_mode: 1
  - .args:
      - .offset:         0
        .size:           440
        .value_kind:     by_value
      - .address_space:  global
        .offset:         440
        .size:           8
        .value_kind:     global_buffer
      - .offset:         448
        .size:           8
        .value_kind:     by_value
      - .offset:         456
        .size:           1
        .value_kind:     by_value
    .group_segment_fixed_size: 0
    .kernarg_segment_align: 8
    .kernarg_segment_size: 460
    .language:       OpenCL C
    .language_version:
      - 2
      - 0
    .max_flat_workgroup_size: 256
    .name:           _ZN4RAJA6policy3hip4impl18forallp_hip_kernelINS1_8hip_execINS_17iteration_mapping6DirectENS_3hip11IndexGlobalILNS_9named_dimE0ELi256ELi0EEENS7_40AvoidDeviceMaxThreadOccupancyConcretizerINS7_34FractionOffsetOccupancyConcretizerINS_8FractionImLm1ELm1EEELln1EEEEELb1EEEPlZN8rajaperf4apps17MATVEC_3D_STENCIL17runHipVariantImplILm256EEEvNSJ_9VariantIDEEUllE_lNS_4expt15ForallParamPackIJEEES6_SA_TnNSt9enable_ifIXaasr3std10is_base_ofINS5_10DirectBaseET4_EE5valuegtsrT5_10block_sizeLi0EEmE4typeELm256EEEvT1_T0_T2_T3_
    .private_segment_fixed_size: 0
    .sgpr_count:     58
    .sgpr_spill_count: 0
    .symbol:         _ZN4RAJA6policy3hip4impl18forallp_hip_kernelINS1_8hip_execINS_17iteration_mapping6DirectENS_3hip11IndexGlobalILNS_9named_dimE0ELi256ELi0EEENS7_40AvoidDeviceMaxThreadOccupancyConcretizerINS7_34FractionOffsetOccupancyConcretizerINS_8FractionImLm1ELm1EEELln1EEEEELb1EEEPlZN8rajaperf4apps17MATVEC_3D_STENCIL17runHipVariantImplILm256EEEvNSJ_9VariantIDEEUllE_lNS_4expt15ForallParamPackIJEEES6_SA_TnNSt9enable_ifIXaasr3std10is_base_ofINS5_10DirectBaseET4_EE5valuegtsrT5_10block_sizeLi0EEmE4typeELm256EEEvT1_T0_T2_T3_.kd
    .uniform_work_group_size: 1
    .uses_dynamic_stack: false
    .vgpr_count:     40
    .vgpr_spill_count: 0
    .wavefront_size: 32
    .workgroup_processor_mode: 1
amdhsa.target:   amdgcn-amd-amdhsa--gfx1201
amdhsa.version:
  - 1
  - 2
...

	.end_amdgpu_metadata
